;; amdgpu-corpus repo=ROCm/rocFFT kind=compiled arch=gfx950 opt=O3
	.text
	.amdgcn_target "amdgcn-amd-amdhsa--gfx950"
	.amdhsa_code_object_version 6
	.protected	fft_rtc_fwd_len1617_factors_3_7_7_11_wgs_231_tpt_231_half_op_CI_CI_sbrr_dirReg ; -- Begin function fft_rtc_fwd_len1617_factors_3_7_7_11_wgs_231_tpt_231_half_op_CI_CI_sbrr_dirReg
	.globl	fft_rtc_fwd_len1617_factors_3_7_7_11_wgs_231_tpt_231_half_op_CI_CI_sbrr_dirReg
	.p2align	8
	.type	fft_rtc_fwd_len1617_factors_3_7_7_11_wgs_231_tpt_231_half_op_CI_CI_sbrr_dirReg,@function
fft_rtc_fwd_len1617_factors_3_7_7_11_wgs_231_tpt_231_half_op_CI_CI_sbrr_dirReg: ; @fft_rtc_fwd_len1617_factors_3_7_7_11_wgs_231_tpt_231_half_op_CI_CI_sbrr_dirReg
; %bb.0:
	s_load_dwordx4 s[12:15], s[0:1], 0x18
	s_load_dwordx4 s[8:11], s[0:1], 0x0
	;; [unrolled: 1-line block ×3, first 2 shown]
	v_mul_u32_u24_e32 v1, 0x11c, v0
	v_add_u32_sdwa v10, s2, v1 dst_sel:DWORD dst_unused:UNUSED_PAD src0_sel:DWORD src1_sel:WORD_1
	s_waitcnt lgkmcnt(0)
	s_load_dwordx2 s[18:19], s[12:13], 0x0
	s_load_dwordx2 s[16:17], s[14:15], 0x0
	v_mov_b32_e32 v8, 0
	v_cmp_lt_u64_e64 s[2:3], s[10:11], 2
	v_mov_b32_e32 v11, v8
	s_and_b64 vcc, exec, s[2:3]
	v_mov_b64_e32 v[6:7], 0
	s_cbranch_vccnz .LBB0_8
; %bb.1:
	s_load_dwordx2 s[2:3], s[0:1], 0x10
	s_add_u32 s20, s14, 8
	s_addc_u32 s21, s15, 0
	s_add_u32 s22, s12, 8
	s_addc_u32 s23, s13, 0
	s_waitcnt lgkmcnt(0)
	s_add_u32 s24, s2, 8
	v_mov_b64_e32 v[6:7], 0
	s_addc_u32 s25, s3, 0
	s_mov_b64 s[26:27], 1
	v_mov_b64_e32 v[2:3], v[6:7]
.LBB0_2:                                ; =>This Inner Loop Header: Depth=1
	s_load_dwordx2 s[28:29], s[24:25], 0x0
                                        ; implicit-def: $vgpr4_vgpr5
	s_waitcnt lgkmcnt(0)
	v_or_b32_e32 v9, s29, v11
	v_cmp_ne_u64_e32 vcc, 0, v[8:9]
	s_and_saveexec_b64 s[2:3], vcc
	s_xor_b64 s[30:31], exec, s[2:3]
	s_cbranch_execz .LBB0_4
; %bb.3:                                ;   in Loop: Header=BB0_2 Depth=1
	v_cvt_f32_u32_e32 v1, s28
	v_cvt_f32_u32_e32 v4, s29
	s_sub_u32 s2, 0, s28
	s_subb_u32 s3, 0, s29
	v_fmac_f32_e32 v1, 0x4f800000, v4
	v_rcp_f32_e32 v1, v1
	s_nop 0
	v_mul_f32_e32 v1, 0x5f7ffffc, v1
	v_mul_f32_e32 v4, 0x2f800000, v1
	v_trunc_f32_e32 v4, v4
	v_fmac_f32_e32 v1, 0xcf800000, v4
	v_cvt_u32_f32_e32 v9, v4
	v_cvt_u32_f32_e32 v1, v1
	v_mul_lo_u32 v4, s2, v9
	v_mul_hi_u32 v12, s2, v1
	v_mul_lo_u32 v5, s3, v1
	v_add_u32_e32 v12, v12, v4
	v_mul_lo_u32 v14, s2, v1
	v_add_u32_e32 v15, v12, v5
	v_mul_hi_u32 v4, v1, v14
	v_mul_hi_u32 v13, v1, v15
	v_mul_lo_u32 v12, v1, v15
	v_mov_b32_e32 v5, v8
	v_lshl_add_u64 v[4:5], v[4:5], 0, v[12:13]
	v_mul_hi_u32 v13, v9, v14
	v_mul_lo_u32 v14, v9, v14
	v_add_co_u32_e32 v4, vcc, v4, v14
	v_mul_hi_u32 v12, v9, v15
	s_nop 0
	v_addc_co_u32_e32 v4, vcc, v5, v13, vcc
	v_mov_b32_e32 v5, v8
	s_nop 0
	v_addc_co_u32_e32 v13, vcc, 0, v12, vcc
	v_mul_lo_u32 v12, v9, v15
	v_lshl_add_u64 v[4:5], v[4:5], 0, v[12:13]
	v_add_co_u32_e32 v1, vcc, v1, v4
	v_mul_lo_u32 v12, s2, v1
	s_nop 0
	v_addc_co_u32_e32 v9, vcc, v9, v5, vcc
	v_mul_lo_u32 v4, s2, v9
	v_mul_hi_u32 v5, s2, v1
	v_add_u32_e32 v4, v5, v4
	v_mul_lo_u32 v5, s3, v1
	v_add_u32_e32 v14, v4, v5
	v_mul_hi_u32 v16, v9, v12
	v_mul_lo_u32 v17, v9, v12
	v_mul_hi_u32 v5, v1, v14
	v_mul_lo_u32 v4, v1, v14
	v_mul_hi_u32 v12, v1, v12
	v_mov_b32_e32 v13, v8
	v_lshl_add_u64 v[4:5], v[12:13], 0, v[4:5]
	v_add_co_u32_e32 v4, vcc, v4, v17
	v_mul_hi_u32 v15, v9, v14
	s_nop 0
	v_addc_co_u32_e32 v4, vcc, v5, v16, vcc
	v_mul_lo_u32 v12, v9, v14
	s_nop 0
	v_addc_co_u32_e32 v13, vcc, 0, v15, vcc
	v_mov_b32_e32 v5, v8
	v_lshl_add_u64 v[4:5], v[4:5], 0, v[12:13]
	v_add_co_u32_e32 v1, vcc, v1, v4
	v_mul_hi_u32 v12, v10, v1
	s_nop 0
	v_addc_co_u32_e32 v9, vcc, v9, v5, vcc
	v_mad_u64_u32 v[4:5], s[2:3], v10, v9, 0
	v_mov_b32_e32 v13, v8
	v_lshl_add_u64 v[4:5], v[12:13], 0, v[4:5]
	v_mad_u64_u32 v[14:15], s[2:3], v11, v1, 0
	v_add_co_u32_e32 v1, vcc, v4, v14
	v_mad_u64_u32 v[12:13], s[2:3], v11, v9, 0
	s_nop 0
	v_addc_co_u32_e32 v4, vcc, v5, v15, vcc
	v_mov_b32_e32 v5, v8
	s_nop 0
	v_addc_co_u32_e32 v13, vcc, 0, v13, vcc
	v_lshl_add_u64 v[4:5], v[4:5], 0, v[12:13]
	v_mul_lo_u32 v1, s29, v4
	v_mul_lo_u32 v9, s28, v5
	v_mad_u64_u32 v[12:13], s[2:3], s28, v4, 0
	v_add3_u32 v1, v13, v9, v1
	v_sub_u32_e32 v9, v11, v1
	v_mov_b32_e32 v13, s29
	v_sub_co_u32_e32 v16, vcc, v10, v12
	v_lshl_add_u64 v[14:15], v[4:5], 0, 1
	s_nop 0
	v_subb_co_u32_e64 v9, s[2:3], v9, v13, vcc
	v_subrev_co_u32_e64 v12, s[2:3], s28, v16
	v_subb_co_u32_e32 v1, vcc, v11, v1, vcc
	s_nop 0
	v_subbrev_co_u32_e64 v9, s[2:3], 0, v9, s[2:3]
	v_cmp_le_u32_e64 s[2:3], s29, v9
	v_cmp_le_u32_e32 vcc, s29, v1
	s_nop 0
	v_cndmask_b32_e64 v13, 0, -1, s[2:3]
	v_cmp_le_u32_e64 s[2:3], s28, v12
	s_nop 1
	v_cndmask_b32_e64 v12, 0, -1, s[2:3]
	v_cmp_eq_u32_e64 s[2:3], s29, v9
	s_nop 1
	v_cndmask_b32_e64 v9, v13, v12, s[2:3]
	v_lshl_add_u64 v[12:13], v[4:5], 0, 2
	v_cmp_ne_u32_e64 s[2:3], 0, v9
	s_nop 1
	v_cndmask_b32_e64 v9, v15, v13, s[2:3]
	v_cndmask_b32_e64 v13, 0, -1, vcc
	v_cmp_le_u32_e32 vcc, s28, v16
	s_nop 1
	v_cndmask_b32_e64 v15, 0, -1, vcc
	v_cmp_eq_u32_e32 vcc, s29, v1
	s_nop 1
	v_cndmask_b32_e32 v1, v13, v15, vcc
	v_cmp_ne_u32_e32 vcc, 0, v1
	v_cndmask_b32_e64 v1, v14, v12, s[2:3]
	s_nop 0
	v_cndmask_b32_e32 v5, v5, v9, vcc
	v_cndmask_b32_e32 v4, v4, v1, vcc
.LBB0_4:                                ;   in Loop: Header=BB0_2 Depth=1
	s_andn2_saveexec_b64 s[2:3], s[30:31]
	s_cbranch_execz .LBB0_6
; %bb.5:                                ;   in Loop: Header=BB0_2 Depth=1
	v_cvt_f32_u32_e32 v1, s28
	s_sub_i32 s30, 0, s28
	v_rcp_iflag_f32_e32 v1, v1
	s_nop 0
	v_mul_f32_e32 v1, 0x4f7ffffe, v1
	v_cvt_u32_f32_e32 v1, v1
	v_mul_lo_u32 v4, s30, v1
	v_mul_hi_u32 v4, v1, v4
	v_add_u32_e32 v1, v1, v4
	v_mul_hi_u32 v1, v10, v1
	v_mul_lo_u32 v4, v1, s28
	v_sub_u32_e32 v4, v10, v4
	v_add_u32_e32 v5, 1, v1
	v_subrev_u32_e32 v9, s28, v4
	v_cmp_le_u32_e32 vcc, s28, v4
	s_nop 1
	v_cndmask_b32_e32 v4, v4, v9, vcc
	v_cndmask_b32_e32 v1, v1, v5, vcc
	v_add_u32_e32 v5, 1, v1
	v_cmp_le_u32_e32 vcc, s28, v4
	s_nop 1
	v_cndmask_b32_e32 v4, v1, v5, vcc
	v_mov_b32_e32 v5, v8
.LBB0_6:                                ;   in Loop: Header=BB0_2 Depth=1
	s_or_b64 exec, exec, s[2:3]
	v_mad_u64_u32 v[12:13], s[2:3], v4, s28, 0
	s_load_dwordx2 s[2:3], s[22:23], 0x0
	v_mul_lo_u32 v1, v5, s28
	v_mul_lo_u32 v9, v4, s29
	s_load_dwordx2 s[28:29], s[20:21], 0x0
	s_add_u32 s26, s26, 1
	v_add3_u32 v1, v13, v9, v1
	v_sub_co_u32_e32 v9, vcc, v10, v12
	s_addc_u32 s27, s27, 0
	s_nop 0
	v_subb_co_u32_e32 v1, vcc, v11, v1, vcc
	s_add_u32 s20, s20, 8
	s_waitcnt lgkmcnt(0)
	v_mul_lo_u32 v10, s2, v1
	v_mul_lo_u32 v11, s3, v9
	v_mad_u64_u32 v[6:7], s[2:3], s2, v9, v[6:7]
	s_addc_u32 s21, s21, 0
	v_add3_u32 v7, v11, v7, v10
	v_mul_lo_u32 v1, s28, v1
	v_mul_lo_u32 v10, s29, v9
	v_mad_u64_u32 v[2:3], s[2:3], s28, v9, v[2:3]
	s_add_u32 s22, s22, 8
	v_add3_u32 v3, v10, v3, v1
	s_addc_u32 s23, s23, 0
	v_mov_b64_e32 v[10:11], s[10:11]
	s_add_u32 s24, s24, 8
	v_cmp_ge_u64_e32 vcc, s[26:27], v[10:11]
	s_addc_u32 s25, s25, 0
	s_cbranch_vccnz .LBB0_9
; %bb.7:                                ;   in Loop: Header=BB0_2 Depth=1
	v_mov_b64_e32 v[10:11], v[4:5]
	s_branch .LBB0_2
.LBB0_8:
	v_mov_b64_e32 v[2:3], v[6:7]
	v_mov_b64_e32 v[4:5], v[10:11]
.LBB0_9:
	s_load_dwordx2 s[0:1], s[0:1], 0x28
	s_lshl_b64 s[20:21], s[10:11], 3
	s_add_u32 s10, s14, s20
	s_addc_u32 s11, s15, s21
                                        ; implicit-def: $vgpr14
                                        ; implicit-def: $vgpr8
	s_waitcnt lgkmcnt(0)
	v_cmp_gt_u64_e32 vcc, s[0:1], v[4:5]
	v_cmp_le_u64_e64 s[0:1], s[0:1], v[4:5]
	s_and_saveexec_b64 s[2:3], s[0:1]
	s_xor_b64 s[0:1], exec, s[2:3]
; %bb.10:
	s_mov_b32 s2, 0x11bb4a5
	v_mul_hi_u32 v1, v0, s2
	v_mul_u32_u24_e32 v1, 0xe7, v1
	v_sub_u32_e32 v14, v0, v1
	v_add_u32_e32 v8, 0xe7, v14
                                        ; implicit-def: $vgpr0
                                        ; implicit-def: $vgpr6_vgpr7
; %bb.11:
	s_or_saveexec_b64 s[2:3], s[0:1]
	s_load_dwordx2 s[10:11], s[10:11], 0x0
                                        ; implicit-def: $vgpr16
                                        ; implicit-def: $vgpr17
                                        ; implicit-def: $vgpr18
                                        ; implicit-def: $vgpr9
                                        ; implicit-def: $vgpr10
                                        ; implicit-def: $vgpr11
                                        ; implicit-def: $vgpr12
                                        ; implicit-def: $vgpr13
                                        ; implicit-def: $vgpr19
	s_xor_b64 exec, exec, s[2:3]
	s_cbranch_execz .LBB0_15
; %bb.12:
	s_add_u32 s0, s12, s20
	s_addc_u32 s1, s13, s21
	s_load_dwordx2 s[0:1], s[0:1], 0x0
	s_mov_b32 s12, 0x11bb4a5
                                        ; implicit-def: $vgpr18
	s_waitcnt lgkmcnt(0)
	v_mul_lo_u32 v1, s1, v4
	v_mul_lo_u32 v10, s0, v5
	v_mad_u64_u32 v[8:9], s[0:1], s0, v4, 0
	v_add3_u32 v9, v9, v10, v1
	v_mul_hi_u32 v1, v0, s12
	v_mul_u32_u24_e32 v1, 0xe7, v1
	v_sub_u32_e32 v14, v0, v1
	v_mad_u64_u32 v[10:11], s[0:1], s18, v14, 0
	v_mov_b32_e32 v0, v11
	v_mad_u64_u32 v[0:1], s[0:1], s19, v14, v[0:1]
	v_mov_b32_e32 v11, v0
	v_lshl_add_u64 v[0:1], v[8:9], 2, s[4:5]
	v_lshl_add_u64 v[0:1], v[6:7], 2, v[0:1]
	v_lshl_add_u64 v[6:7], v[10:11], 2, v[0:1]
	v_add_u32_e32 v11, 0x21b, v14
	v_mad_u64_u32 v[8:9], s[0:1], s18, v11, 0
	v_mov_b32_e32 v10, v9
	v_mad_u64_u32 v[10:11], s[0:1], s19, v11, v[10:11]
	v_mov_b32_e32 v9, v10
	v_add_u32_e32 v11, 0x436, v14
	v_lshl_add_u64 v[16:17], v[8:9], 2, v[0:1]
	v_mad_u64_u32 v[8:9], s[0:1], s18, v11, 0
	v_mov_b32_e32 v10, v9
	v_mad_u64_u32 v[10:11], s[0:1], s19, v11, v[10:11]
	v_mov_b32_e32 v9, v10
	v_lshl_add_u64 v[20:21], v[8:9], 2, v[0:1]
	v_add_u32_e32 v8, 0xe7, v14
	v_mad_u64_u32 v[10:11], s[0:1], s18, v8, 0
	v_mov_b32_e32 v12, v11
	v_mad_u64_u32 v[12:13], s[0:1], s19, v8, v[12:13]
	v_mov_b32_e32 v11, v12
	v_add_u32_e32 v9, 0x302, v14
	v_lshl_add_u64 v[22:23], v[10:11], 2, v[0:1]
	v_mad_u64_u32 v[10:11], s[0:1], s18, v9, 0
	v_mov_b32_e32 v12, v11
	v_mad_u64_u32 v[12:13], s[0:1], s19, v9, v[12:13]
	v_mov_b32_e32 v11, v12
	v_add_u32_e32 v9, 0x51d, v14
	v_lshl_add_u64 v[24:25], v[10:11], 2, v[0:1]
	v_mad_u64_u32 v[10:11], s[0:1], s18, v9, 0
	v_mov_b32_e32 v12, v11
	v_mad_u64_u32 v[12:13], s[0:1], s19, v9, v[12:13]
	v_mov_b32_e32 v11, v12
	v_lshl_add_u64 v[26:27], v[10:11], 2, v[0:1]
	global_load_dword v12, v[6:7], off
	global_load_dword v13, v[16:17], off
	;; [unrolled: 1-line block ×6, first 2 shown]
	s_movk_i32 s0, 0x4d
	v_cmp_gt_u32_e64 s[0:1], s0, v14
                                        ; implicit-def: $vgpr17
                                        ; implicit-def: $vgpr16
	s_and_saveexec_b64 s[4:5], s[0:1]
	s_cbranch_execz .LBB0_14
; %bb.13:
	v_add_u32_e32 v15, 0x1ce, v14
	v_mad_u64_u32 v[6:7], s[0:1], s18, v15, 0
	v_mov_b32_e32 v16, v7
	v_mad_u64_u32 v[16:17], s[0:1], s19, v15, v[16:17]
	v_add_u32_e32 v15, 0x3e9, v14
	v_mov_b32_e32 v7, v16
	v_mad_u64_u32 v[16:17], s[0:1], s18, v15, 0
	v_mov_b32_e32 v18, v17
	s_waitcnt vmcnt(3)
	v_mad_u64_u32 v[20:21], s[0:1], s19, v15, v[18:19]
	v_mov_b32_e32 v17, v20
	v_add_u32_e32 v15, 0x604, v14
	v_lshl_add_u64 v[20:21], v[16:17], 2, v[0:1]
	v_mad_u64_u32 v[16:17], s[0:1], s18, v15, 0
	v_mov_b32_e32 v18, v17
	v_mad_u64_u32 v[22:23], s[0:1], s19, v15, v[18:19]
	v_lshl_add_u64 v[6:7], v[6:7], 2, v[0:1]
	v_mov_b32_e32 v17, v22
	v_lshl_add_u64 v[0:1], v[16:17], 2, v[0:1]
	global_load_dword v16, v[6:7], off
	global_load_dword v18, v[20:21], off
	;; [unrolled: 1-line block ×3, first 2 shown]
.LBB0_14:
	s_or_b64 exec, exec, s[4:5]
.LBB0_15:
	s_or_b64 exec, exec, s[2:3]
	s_waitcnt vmcnt(0)
	v_pk_add_f16 v0, v17, v18
	v_pk_add_f16 v1, v18, v17 neg_lo:[0,1] neg_hi:[0,1]
	s_movk_i32 s0, 0x3aee
	v_pk_fma_f16 v6, v0, 0.5, v16 op_sel_hi:[1,0,1] neg_lo:[1,0,0] neg_hi:[1,0,0]
	v_pk_mul_f16 v1, v1, s0 op_sel_hi:[1,0]
	v_pk_add_f16 v20, v13, v19
	v_pk_add_f16 v0, v6, v1 op_sel:[0,1] op_sel_hi:[1,0] neg_lo:[0,1] neg_hi:[0,1]
	v_pk_add_f16 v1, v6, v1 op_sel:[0,1] op_sel_hi:[1,0]
	v_pk_add_f16 v6, v12, v13
	v_pk_add_f16 v13, v13, v19 neg_lo:[0,1] neg_hi:[0,1]
	v_pk_fma_f16 v12, v20, 0.5, v12 op_sel_hi:[1,0,1] neg_lo:[1,0,0] neg_hi:[1,0,0]
	v_pk_mul_f16 v13, v13, s0 op_sel_hi:[1,0]
	s_mov_b32 s4, 0xffff
	v_pk_add_f16 v6, v6, v19
	v_pk_add_f16 v19, v12, v13 op_sel:[0,1] op_sel_hi:[1,0]
	v_pk_add_f16 v12, v12, v13 op_sel:[0,1] op_sel_hi:[1,0] neg_lo:[0,1] neg_hi:[0,1]
	v_bfi_b32 v7, s4, v1, v0
	v_lshrrev_b32_e32 v15, 16, v1
	v_mad_u32_u24 v1, v14, 12, 0
	v_bfi_b32 v13, s4, v19, v12
	ds_write2_b32 v1, v6, v13 offset1:1
	v_bfi_b32 v6, s4, v12, v19
	v_pk_add_f16 v12, v9, v10
	v_pk_add_f16 v13, v10, v11
	v_pk_add_f16 v10, v10, v11 neg_lo:[0,1] neg_hi:[0,1]
	v_pk_fma_f16 v9, v13, 0.5, v9 op_sel_hi:[1,0,1] neg_lo:[1,0,0] neg_hi:[1,0,0]
	v_pk_mul_f16 v10, v10, s0 op_sel_hi:[1,0]
	v_pk_add_f16 v12, v12, v11
	v_pk_add_f16 v11, v9, v10 op_sel:[0,1] op_sel_hi:[1,0]
	v_pk_add_f16 v9, v9, v10 op_sel:[0,1] op_sel_hi:[1,0] neg_lo:[0,1] neg_hi:[0,1]
	s_movk_i32 s0, 0x4d
	ds_write_b32 v1, v6 offset:8
	v_mad_i32_i24 v6, v8, 12, 0
	v_bfi_b32 v10, s4, v11, v9
	v_bfi_b32 v9, s4, v9, v11
	v_cmp_gt_u32_e64 s[0:1], s0, v14
	ds_write2_b32 v6, v12, v10 offset1:1
	ds_write_b32 v6, v9 offset:8
	s_and_saveexec_b64 s[2:3], s[0:1]
	s_cbranch_execz .LBB0_17
; %bb.16:
	v_pk_add_f16 v10, v18, v16
	v_add_u32_e32 v9, 0x15a8, v1
	v_pk_add_f16 v10, v17, v10
	s_mov_b32 s0, 0x5040100
	ds_write2_b32 v9, v10, v7 offset1:1
	v_perm_b32 v9, v15, v0, s0
	ds_write_b32 v1, v9 offset:5552
.LBB0_17:
	s_or_b64 exec, exec, s[2:3]
	s_movk_i32 s0, 0xab
	v_mul_lo_u16_sdwa v9, v14, s0 dst_sel:DWORD dst_unused:UNUSED_PAD src0_sel:BYTE_0 src1_sel:DWORD
	v_lshrrev_b16_e32 v16, 9, v9
	v_mul_lo_u16_e32 v9, 3, v16
	v_sub_u16_e32 v22, v14, v9
	v_mov_b32_e32 v23, 6
	v_mul_u32_u24_sdwa v9, v22, v23 dst_sel:DWORD dst_unused:UNUSED_PAD src0_sel:BYTE_0 src1_sel:DWORD
	v_lshlrev_b32_e32 v9, 2, v9
	s_waitcnt lgkmcnt(0)
	s_barrier
	global_load_dwordx4 v[10:13], v9, s[8:9]
	global_load_dwordx2 v[18:19], v9, s[8:9] offset:16
	v_lshlrev_b32_e32 v17, 3, v14
	v_lshlrev_b32_e32 v8, 3, v8
	v_sub_u32_e32 v24, v1, v17
	v_sub_u32_e32 v6, v6, v8
	v_add_u32_e32 v29, 0xe40, v24
	ds_read_b32 v25, v24
	v_add_u32_e32 v26, 0x700, v24
	ds_read_b32 v27, v6
	ds_read_b32 v28, v24 offset:5544
	ds_read2_b32 v[8:9], v26 offset0:14 offset1:245
	ds_read2_b32 v[20:21], v29 offset0:12 offset1:243
	s_movk_i32 s3, 0x39e0
	s_waitcnt lgkmcnt(3)
	v_lshrrev_b32_e32 v30, 16, v27
	s_waitcnt lgkmcnt(2)
	v_lshrrev_b32_e32 v31, 16, v28
	;; [unrolled: 2-line block ×3, first 2 shown]
	v_lshrrev_b32_e32 v33, 16, v9
	s_waitcnt lgkmcnt(0)
	v_lshrrev_b32_e32 v34, 16, v20
	v_lshrrev_b32_e32 v35, 16, v21
	s_movk_i32 s1, 0x3b00
	s_movk_i32 s0, 0x2b26
	s_mov_b32 s2, 0xbcab
	v_mul_u32_u24_e32 v16, 0x54, v16
	s_barrier
	s_mov_b32 s12, 0x5040100
	s_mov_b32 s13, 0x7060302
	s_mov_b32 s5, 0xb846
	s_waitcnt vmcnt(1)
	v_mul_f16_sdwa v36, v10, v30 dst_sel:DWORD dst_unused:UNUSED_PAD src0_sel:WORD_1 src1_sel:DWORD
	v_mul_f16_sdwa v37, v10, v27 dst_sel:DWORD dst_unused:UNUSED_PAD src0_sel:WORD_1 src1_sel:DWORD
	;; [unrolled: 1-line block ×8, first 2 shown]
	s_waitcnt vmcnt(0)
	v_mul_f16_sdwa v44, v18, v35 dst_sel:DWORD dst_unused:UNUSED_PAD src0_sel:WORD_1 src1_sel:DWORD
	v_mul_f16_sdwa v45, v18, v21 dst_sel:DWORD dst_unused:UNUSED_PAD src0_sel:WORD_1 src1_sel:DWORD
	;; [unrolled: 1-line block ×4, first 2 shown]
	v_fma_f16 v27, v10, v27, -v36
	v_fma_f16 v10, v10, v30, v37
	v_fma_f16 v8, v11, v8, -v38
	v_fma_f16 v11, v11, v32, v39
	v_fma_f16 v9, v12, v9, -v40
	v_fma_f16 v12, v12, v33, v41
	v_fma_f16 v20, v13, v20, -v42
	v_fma_f16 v13, v13, v34, v43
	v_fma_f16 v21, v18, v21, -v44
	v_fma_f16 v18, v18, v35, v45
	v_fma_f16 v28, v19, v28, -v46
	v_fma_f16 v19, v19, v31, v47
	v_add_f16_e32 v30, v27, v28
	v_add_f16_e32 v31, v10, v19
	v_sub_f16_e32 v27, v27, v28
	v_sub_f16_e32 v10, v10, v19
	v_add_f16_e32 v19, v8, v21
	v_add_f16_e32 v28, v11, v18
	v_sub_f16_e32 v8, v8, v21
	v_sub_f16_e32 v11, v11, v18
	v_add_f16_e32 v18, v9, v20
	v_add_f16_e32 v21, v12, v13
	v_sub_f16_e32 v9, v20, v9
	v_sub_f16_e32 v12, v13, v12
	v_add_f16_e32 v13, v19, v30
	v_add_f16_e32 v20, v28, v31
	v_sub_f16_e32 v32, v19, v30
	v_sub_f16_e32 v33, v28, v31
	v_sub_f16_e32 v30, v30, v18
	v_sub_f16_e32 v31, v31, v21
	;; [unrolled: 1-line block ×4, first 2 shown]
	v_add_f16_e32 v34, v9, v8
	v_sub_f16_e32 v36, v9, v8
	v_sub_f16_e32 v37, v12, v11
	;; [unrolled: 1-line block ×4, first 2 shown]
	v_add_f16_e32 v13, v18, v13
	v_add_f16_e32 v18, v21, v20
	;; [unrolled: 1-line block ×3, first 2 shown]
	v_mul_f16_e32 v21, 0x3a52, v30
	v_mul_f16_e32 v27, 0x3a52, v31
	;; [unrolled: 1-line block ×4, first 2 shown]
	v_add_f16_e32 v35, v12, v11
	v_sub_f16_e32 v11, v11, v10
	v_mul_f16_e32 v34, 0xb846, v36
	v_mul_f16_e32 v36, 0xb846, v37
	v_fma_f16 v30, v32, s3, v30
	v_fma_f16 v31, v33, s3, v31
	s_mov_b32 s3, 0xb9e0
	v_sub_f16_e32 v12, v10, v12
	v_add_f16_e32 v10, v35, v10
	v_add_f16_e32 v35, v13, v25
	v_add_f16_sdwa v25, v18, v25 dst_sel:DWORD dst_unused:UNUSED_PAD src0_sel:DWORD src1_sel:WORD_1
	v_mul_f16_e32 v37, 0x3b00, v8
	v_mul_f16_e32 v38, 0x3b00, v11
	v_fma_f16 v19, v19, s0, v21
	v_fma_f16 v28, v28, s0, v27
	v_fma_f16 v21, v32, s3, -v21
	v_fma_f16 v27, v33, s3, -v27
	s_movk_i32 s3, 0x3574
	v_fma_f16 v8, v8, s1, -v34
	v_fma_f16 v11, v11, s1, -v36
	s_mov_b32 s1, 0xb574
	v_fma_f16 v13, v13, s2, v35
	v_fma_f16 v18, v18, s2, v25
	;; [unrolled: 1-line block ×4, first 2 shown]
	v_fma_f16 v9, v9, s1, -v37
	v_fma_f16 v12, v12, s1, -v38
	s_movk_i32 s1, 0x370e
	v_add_f16_e32 v19, v19, v13
	v_add_f16_e32 v28, v28, v18
	;; [unrolled: 1-line block ×6, first 2 shown]
	v_fma_f16 v27, v10, s1, v33
	v_fma_f16 v11, v10, s1, v11
	;; [unrolled: 1-line block ×6, first 2 shown]
	v_add_f16_e32 v12, v27, v19
	v_add_f16_e32 v32, v10, v13
	v_sub_f16_e32 v10, v13, v10
	v_sub_f16_e32 v13, v19, v27
	v_mov_b32_e32 v27, 2
	v_sub_f16_e32 v33, v18, v9
	v_sub_f16_e32 v34, v30, v11
	v_add_f16_e32 v36, v8, v31
	v_add_f16_e32 v11, v11, v30
	v_sub_f16_e32 v8, v31, v8
	v_add_f16_e32 v9, v9, v18
	v_lshlrev_b32_sdwa v19, v27, v22 dst_sel:DWORD dst_unused:UNUSED_PAD src0_sel:DWORD src1_sel:BYTE_0
	v_add_f16_e32 v18, v21, v28
	v_add3_u32 v16, 0, v16, v19
	v_pack_b32_f16 v8, v11, v8
	v_pack_b32_f16 v9, v10, v9
	ds_write2_b32 v16, v8, v9 offset0:12 offset1:15
	v_pack_b32_f16 v8, v13, v18
	s_movk_i32 s3, 0x87
	ds_write_b32 v16, v8 offset:72
	v_mul_lo_u16_sdwa v8, v14, s3 dst_sel:DWORD dst_unused:UNUSED_PAD src0_sel:BYTE_0 src1_sel:DWORD
	v_sub_u16_sdwa v9, v14, v8 dst_sel:DWORD dst_unused:UNUSED_PAD src0_sel:DWORD src1_sel:BYTE_1
	v_lshrrev_b16_e32 v9, 1, v9
	v_sub_f16_e32 v20, v28, v21
	v_and_b32_e32 v9, 0x7f, v9
	v_pack_b32_f16 v19, v35, v25
	v_pack_b32_f16 v12, v12, v20
	v_add_u16_sdwa v8, v9, v8 dst_sel:DWORD dst_unused:UNUSED_PAD src0_sel:DWORD src1_sel:BYTE_1
	ds_write2_b32 v16, v19, v12 offset1:3
	v_pack_b32_f16 v12, v32, v33
	v_pack_b32_f16 v19, v34, v36
	v_lshrrev_b16_e32 v8, 4, v8
	ds_write2_b32 v16, v12, v19 offset0:6 offset1:9
	v_and_b32_e32 v16, 15, v8
	v_mul_lo_u16_e32 v8, 21, v16
	v_sub_u16_e32 v22, v14, v8
	v_mul_u32_u24_sdwa v8, v22, v23 dst_sel:DWORD dst_unused:UNUSED_PAD src0_sel:BYTE_0 src1_sel:DWORD
	v_lshlrev_b32_e32 v18, 2, v8
	s_waitcnt lgkmcnt(0)
	s_barrier
	global_load_dwordx4 v[8:11], v18, s[8:9] offset:72
	global_load_dwordx2 v[12:13], v18, s[8:9] offset:88
	ds_read_b32 v23, v24
	ds_read2_b32 v[18:19], v26 offset0:14 offset1:245
	ds_read2_b32 v[20:21], v29 offset0:12 offset1:243
	ds_read_b32 v6, v6
	ds_read_b32 v24, v24 offset:5544
	s_mov_b32 s3, 0xab26
	s_waitcnt lgkmcnt(0)
	v_lshrrev_b32_e32 v28, 16, v20
	v_bfi_b32 v29, s4, v19, v20
	v_alignbit_b32 v20, v20, v19, 16
	s_barrier
	s_waitcnt vmcnt(1)
	v_alignbit_b32 v25, v11, v10, 16
	v_pk_mul_f16 v30, v25, v20
	v_lshrrev_b32_e32 v26, 16, v11
	v_fma_f16 v19, v10, v19, -v30
	v_lshrrev_b32_e32 v30, 16, v30
	v_bfi_b32 v10, s4, v10, v11
	v_fma_f16 v26, -v26, v28, v30
	v_pk_mul_f16 v10, v10, v20
	v_mul_f16_sdwa v30, v8, v6 dst_sel:DWORD dst_unused:UNUSED_PAD src0_sel:WORD_1 src1_sel:WORD_1
	v_pk_fma_f16 v10, v25, v29, v10
	v_perm_b32 v28, v6, v18, s12
	v_perm_b32 v29, v6, v18, s13
	v_fma_f16 v6, v8, v6, -v30
	v_mul_f16_sdwa v30, v9, v18 dst_sel:DWORD dst_unused:UNUSED_PAD src0_sel:WORD_1 src1_sel:WORD_1
	s_waitcnt vmcnt(0)
	v_alignbit_b32 v11, v13, v12, 16
	v_lshrrev_b32_e32 v25, 16, v24
	v_fma_f16 v18, v9, v18, -v30
	v_perm_b32 v30, v8, v9, s12
	v_perm_b32 v8, v8, v9, s13
	v_bfi_b32 v9, s4, v21, v24
	v_alignbit_b32 v24, v24, v21, 16
	v_pk_mul_f16 v8, v8, v28
	v_pk_mul_f16 v28, v11, v24
	v_lshrrev_b32_e32 v20, 16, v13
	v_fma_f16 v21, v12, v21, -v28
	v_lshrrev_b32_e32 v28, 16, v28
	v_bfi_b32 v12, s4, v12, v13
	v_fma_f16 v20, -v20, v25, v28
	v_pk_mul_f16 v12, v12, v24
	v_pk_fma_f16 v8, v30, v29, v8
	v_pk_fma_f16 v9, v11, v9, v12
	v_add_f16_e32 v11, v6, v20
	v_sub_f16_e32 v6, v6, v20
	v_add_f16_e32 v12, v18, v21
	v_sub_f16_e32 v18, v18, v21
	v_sub_f16_e32 v20, v26, v19
	v_pk_add_f16 v13, v8, v9
	v_pk_add_f16 v9, v8, v9 neg_lo:[0,1] neg_hi:[0,1]
	v_alignbit_b32 v8, s0, v10, 16
	v_add_f16_e32 v21, v20, v18
	v_pk_add_f16 v8, v8, v10 neg_lo:[0,1] neg_hi:[0,1]
	v_add_f16_e32 v21, v21, v6
	v_pack_b32_f16 v18, v18, v13
	v_bfi_b32 v6, s4, v6, v13
	v_sub_f16_e32 v24, v8, v9
	v_add_f16_e32 v25, v8, v9
	v_pk_add_f16 v30, v18, v6 neg_lo:[0,1] neg_hi:[0,1]
	s_mov_b32 s12, 0x39e03b00
	v_bfi_b32 v31, s4, v12, v9
	v_pack_b32_f16 v8, v11, v8
	v_pk_mul_f16 v30, v30, s12
	v_pk_add_f16 v31, v31, v8 neg_lo:[0,1] neg_hi:[0,1]
	s_mov_b32 s12, 0x357439e0
	v_pk_mul_f16 v33, v31, s12
	v_add_f16_sdwa v25, v25, v9 dst_sel:DWORD dst_unused:UNUSED_PAD src0_sel:DWORD src1_sel:WORD_1
	v_lshrrev_b32_e32 v8, 16, v33
	v_fma_f16 v8, v24, s5, v8
	s_movk_i32 s5, 0x24c
	v_fma_f16 v34, v25, s1, v8
	v_mul_u32_u24_sdwa v8, v16, s5 dst_sel:DWORD dst_unused:UNUSED_PAD src0_sel:WORD_0 src1_sel:DWORD
	v_lshlrev_b32_sdwa v16, v27, v22 dst_sel:DWORD dst_unused:UNUSED_PAD src0_sel:DWORD src1_sel:BYTE_0
	v_add3_u32 v27, 0, v8, v16
	v_pack_b32_f16 v8, v12, v10
	v_bfi_b32 v10, s4, v11, v10
	v_pack_b32_f16 v32, v11, v9
	v_pk_add_f16 v10, v8, v10
	v_pack_b32_f16 v8, v19, v13
	v_bfi_b32 v11, s4, v26, v13
	v_pk_add_f16 v11, v8, v11
	v_mul_f16_e32 v28, 0x370e, v21
	v_pk_add_f16 v13, v10, v11
	v_bfi_b32 v10, s4, v20, v10
	v_pk_add_f16 v8, v13, v23
	v_lshrrev_b32_e32 v19, 16, v13
	v_lshrrev_b32_e32 v16, 16, v8
	v_fma_f16 v13, v13, s2, v8
	v_fma_f16 v19, v19, s2, v16
	v_pk_add_f16 v6, v6, v10 neg_lo:[0,1] neg_hi:[0,1]
	s_mov_b32 s2, 0x3a523574
	v_pk_add_f16 v18, v10, v18 neg_lo:[0,1] neg_hi:[0,1]
	v_pk_mul_f16 v6, v6, s2
	s_mov_b32 s2, 0x2b26b846
	v_bfi_b32 v9, s4, v11, v9
	v_pk_fma_f16 v10, v18, s2, v6
	v_pack_b32_f16 v20, v28, v19
	v_pk_fma_f16 v18, v18, s2, v30 neg_lo:[1,0,0] neg_hi:[1,0,0]
	v_pk_add_f16 v9, v32, v9 neg_lo:[0,1] neg_hi:[0,1]
	s_mov_b32 s2, 0x3b003a52
	v_sub_f16_e32 v12, v11, v12
	v_pk_add_f16 v23, v20, v10
	v_sub_f16_sdwa v10, -v6, v30 dst_sel:DWORD dst_unused:UNUSED_PAD src0_sel:WORD_1 src1_sel:WORD_1
	v_pk_mul_f16 v9, v9, s2
	v_add_f16_e32 v22, v10, v19
	v_fma_f16 v10, v12, s0, v9
	v_fma_f16 v11, v12, s3, v33
	v_lshrrev_b32_e32 v12, 16, v9
	s_movk_i32 s0, 0x3846
	v_mul_f16_e32 v29, 0x370e, v25
	v_fma_f16 v12, v24, s0, v12
	v_sub_f16_e64 v6, -v30, v6
	v_pk_fma_f16 v9, v31, s12, v9 neg_lo:[1,0,1] neg_hi:[1,0,1]
	v_add_f16_e32 v24, v10, v13
	v_add_f16_e32 v10, v11, v13
	v_fma_f16 v11, v25, s1, v12
	v_pack_b32_f16 v12, v13, v29
	v_pk_add_f16 v26, v18, v20
	v_fma_f16 v6, v21, s1, v6
	v_pk_add_f16 v25, v9, v12
	v_add_f16_e32 v9, v34, v24
	v_sub_f16_sdwa v18, v23, v23 dst_sel:DWORD dst_unused:UNUSED_PAD src0_sel:WORD_1 src1_sel:DWORD
	v_add_f16_sdwa v12, v25, v25 dst_sel:DWORD dst_unused:UNUSED_PAD src0_sel:WORD_1 src1_sel:DWORD
	v_sub_f16_e32 v19, v22, v6
	v_sub_f16_e32 v13, v10, v11
	v_add_f16_sdwa v20, v26, v26 dst_sel:DWORD dst_unused:UNUSED_PAD src0_sel:DWORD src1_sel:WORD_1
	v_add_f16_e32 v22, v6, v22
	v_sub_f16_e32 v6, v24, v34
	v_pack_b32_f16 v24, v9, v18
	v_add_f16_e32 v10, v11, v10
	v_sub_f16_sdwa v21, v26, v26 dst_sel:DWORD dst_unused:UNUSED_PAD src0_sel:WORD_1 src1_sel:DWORD
	v_sub_f16_sdwa v11, v25, v25 dst_sel:DWORD dst_unused:UNUSED_PAD src0_sel:DWORD src1_sel:WORD_1
	ds_write2_b32 v27, v8, v24 offset1:21
	v_pack_b32_f16 v24, v12, v19
	v_pack_b32_f16 v25, v13, v20
	v_add_f16_sdwa v23, v23, v23 dst_sel:DWORD dst_unused:UNUSED_PAD src0_sel:DWORD src1_sel:WORD_1
	ds_write2_b32 v27, v24, v25 offset0:42 offset1:63
	v_pack_b32_f16 v24, v10, v21
	v_pack_b32_f16 v25, v11, v22
	s_movk_i32 s4, 0x93
	ds_write2_b32 v27, v24, v25 offset0:84 offset1:105
	v_pack_b32_f16 v24, v6, v23
	v_cmp_gt_u32_e64 s[0:1], s4, v14
	ds_write_b32 v27, v24 offset:504
	s_waitcnt lgkmcnt(0)
	s_barrier
	s_waitcnt lgkmcnt(0)
                                        ; implicit-def: $vgpr26
                                        ; implicit-def: $vgpr24
                                        ; implicit-def: $vgpr25
	s_and_saveexec_b64 s[2:3], s[0:1]
	s_cbranch_execz .LBB0_19
; %bb.18:
	v_sub_u32_e32 v0, 0, v17
	v_add_u32_e32 v6, v1, v0
	v_add_u32_e32 v0, 0x400, v6
	;; [unrolled: 1-line block ×3, first 2 shown]
	ds_read2_b32 v[8:9], v6 offset1:147
	v_add_u32_e32 v7, 0x800, v6
	ds_read2_b32 v[12:13], v0 offset0:38 offset1:185
	ds_read2_b32 v[0:1], v1 offset0:24 offset1:171
	;; [unrolled: 1-line block ×3, first 2 shown]
	ds_read_b32 v24, v6 offset:5880
	v_add_u32_e32 v6, 0xd00, v6
	ds_read2_b32 v[6:7], v6 offset0:50 offset1:197
	s_waitcnt lgkmcnt(5)
	v_lshrrev_b32_e32 v16, 16, v8
	s_waitcnt lgkmcnt(3)
	v_lshrrev_b32_e32 v15, 16, v0
	v_lshrrev_b32_e32 v25, 16, v1
	s_waitcnt lgkmcnt(1)
	v_lshrrev_b32_e32 v26, 16, v24
	v_lshrrev_b32_e32 v18, 16, v9
	;; [unrolled: 1-line block ×6, first 2 shown]
	s_waitcnt lgkmcnt(0)
	v_lshrrev_b32_e32 v23, 16, v6
.LBB0_19:
	s_or_b64 exec, exec, s[2:3]
	v_cmp_gt_u32_e64 s[2:3], s4, v14
	s_and_b64 s[2:3], vcc, s[2:3]
	s_and_saveexec_b64 s[4:5], s[2:3]
	s_cbranch_execz .LBB0_21
; %bb.20:
	v_add_u32_e32 v17, 0xffffff6d, v14
	v_cndmask_b32_e64 v17, v17, v14, s[0:1]
	v_mul_i32_i24_e32 v28, 10, v17
	v_mov_b32_e32 v29, 0
	v_lshl_add_u64 v[36:37], v[28:29], 2, s[8:9]
	global_load_dwordx4 v[28:31], v[36:37], off offset:576
	global_load_dwordx2 v[38:39], v[36:37], off offset:608
	global_load_dwordx4 v[32:35], v[36:37], off offset:592
	v_mul_lo_u32 v17, s11, v4
	v_mul_lo_u32 v27, s10, v5
	v_mad_u64_u32 v[4:5], s[0:1], s10, v4, 0
	v_add3_u32 v5, v5, v27, v17
	v_lshrrev_b32_e32 v36, 16, v7
	s_mov_b32 s0, 0xbbad
	s_movk_i32 s1, 0x3abb
	s_mov_b32 s2, 0xb93d
	s_movk_i32 s3, 0x36a6
	s_mov_b32 s4, 0xb08e
	v_lshl_add_u64 v[4:5], v[4:5], 2, s[6:7]
	v_lshl_add_u64 v[2:3], v[2:3], 2, v[4:5]
	v_add_u32_e32 v5, 0x93, v14
	s_waitcnt vmcnt(2)
	v_mul_f16_sdwa v17, v18, v28 dst_sel:DWORD dst_unused:UNUSED_PAD src0_sel:DWORD src1_sel:WORD_1
	s_waitcnt vmcnt(1)
	v_mul_f16_sdwa v27, v26, v39 dst_sel:DWORD dst_unused:UNUSED_PAD src0_sel:DWORD src1_sel:WORD_1
	v_mul_f16_sdwa v37, v24, v39 dst_sel:DWORD dst_unused:UNUSED_PAD src0_sel:DWORD src1_sel:WORD_1
	;; [unrolled: 1-line block ×5, first 2 shown]
	v_fma_f16 v9, v9, v28, -v17
	v_fma_f16 v17, v24, v39, -v27
	v_mul_f16_sdwa v43, v1, v38 dst_sel:DWORD dst_unused:UNUSED_PAD src0_sel:DWORD src1_sel:WORD_1
	v_mul_f16_sdwa v44, v12, v29 dst_sel:DWORD dst_unused:UNUSED_PAD src0_sel:DWORD src1_sel:WORD_1
	;; [unrolled: 1-line block ×3, first 2 shown]
	s_waitcnt vmcnt(0)
	v_mul_f16_sdwa v46, v15, v35 dst_sel:DWORD dst_unused:UNUSED_PAD src0_sel:DWORD src1_sel:WORD_1
	v_fma_f16 v24, v26, v39, v37
	v_fma_f16 v18, v18, v28, v40
	v_fma_f16 v12, v12, v29, -v41
	v_fma_f16 v1, v1, v38, -v42
	v_sub_f16_e32 v27, v9, v17
	v_mul_f16_sdwa v47, v0, v35 dst_sel:DWORD dst_unused:UNUSED_PAD src0_sel:DWORD src1_sel:WORD_1
	v_mul_f16_sdwa v48, v13, v30 dst_sel:DWORD dst_unused:UNUSED_PAD src0_sel:DWORD src1_sel:WORD_1
	;; [unrolled: 1-line block ×5, first 2 shown]
	v_fma_f16 v25, v25, v38, v43
	v_fma_f16 v19, v19, v29, v44
	v_fma_f16 v13, v13, v30, -v45
	v_fma_f16 v0, v0, v35, -v46
	v_add_f16_e32 v28, v18, v24
	v_sub_f16_e32 v29, v12, v1
	v_mul_f16_e32 v41, 0xb482, v27
	v_mul_f16_sdwa v51, v7, v34 dst_sel:DWORD dst_unused:UNUSED_PAD src0_sel:DWORD src1_sel:WORD_1
	v_mul_f16_sdwa v53, v22, v32 dst_sel:DWORD dst_unused:UNUSED_PAD src0_sel:DWORD src1_sel:WORD_1
	;; [unrolled: 1-line block ×5, first 2 shown]
	v_fma_f16 v15, v15, v35, v47
	v_fma_f16 v20, v20, v30, v48
	v_fma_f16 v10, v10, v31, -v49
	v_fma_f16 v7, v7, v34, -v50
	v_fma_f16 v21, v21, v31, v52
	v_add_f16_e32 v30, v19, v25
	v_sub_f16_e32 v31, v13, v0
	v_mul_f16_e32 v42, 0x3853, v29
	v_fma_f16 v48, v28, s0, v41
	v_fma_f16 v26, v36, v34, v51
	v_fma_f16 v11, v11, v32, -v53
	v_fma_f16 v6, v6, v33, -v54
	v_fma_f16 v23, v23, v33, v55
	v_fma_f16 v22, v22, v32, v56
	v_add_f16_e32 v32, v20, v15
	v_sub_f16_e32 v33, v10, v7
	v_mul_f16_e32 v43, 0xba0c, v31
	v_fma_f16 v49, v30, s1, v42
	v_add_f16_e32 v48, v16, v48
	v_add_f16_e32 v34, v21, v26
	v_sub_f16_e32 v35, v11, v6
	v_sub_f16_e32 v38, v18, v24
	v_mul_f16_e32 v44, 0x3b47, v33
	v_fma_f16 v50, v32, s2, v43
	v_add_f16_e32 v48, v48, v49
	v_add_f16_e32 v36, v22, v23
	;; [unrolled: 1-line block ×3, first 2 shown]
	v_sub_f16_e32 v40, v19, v25
	v_mul_f16_e32 v45, 0xbbeb, v35
	v_mul_f16_e32 v46, 0xb482, v38
	v_fma_f16 v51, v34, s3, v44
	v_add_f16_e32 v48, v48, v50
	v_add_f16_e32 v39, v12, v1
	v_mul_f16_e32 v47, 0x3853, v40
	v_fma_f16 v52, v36, s4, v45
	v_fma_f16 v53, v37, s0, -v46
	v_add_f16_e32 v48, v48, v51
	v_sub_f16_e32 v51, v20, v15
	v_fma_f16 v54, v39, s1, -v47
	v_add_f16_e32 v53, v8, v53
	v_add_f16_e32 v48, v48, v52
	;; [unrolled: 1-line block ×3, first 2 shown]
	v_mul_f16_e32 v52, 0xba0c, v51
	v_add_f16_e32 v49, v53, v54
	v_fma_f16 v53, v50, s2, -v52
	v_sub_f16_e32 v54, v21, v26
	v_add_f16_e32 v49, v49, v53
	v_add_f16_e32 v53, v10, v7
	v_mul_f16_e32 v55, 0x3b47, v54
	v_add_f16_e32 v9, v8, v9
	v_fma_f16 v56, v53, s3, -v55
	v_sub_f16_e32 v57, v22, v23
	v_add_f16_e32 v9, v9, v12
	v_add_f16_e32 v49, v49, v56
	;; [unrolled: 1-line block ×3, first 2 shown]
	v_mul_f16_e32 v58, 0xbbeb, v57
	v_add_f16_e32 v9, v9, v13
	v_fma_f16 v59, v56, s4, -v58
	v_add_f16_e32 v9, v9, v10
	v_add_f16_e32 v49, v49, v59
	v_mul_f16_e32 v59, 0xba0c, v27
	v_add_f16_e32 v9, v9, v11
	v_fma_f16 v60, v28, s2, v59
	v_mul_f16_e32 v61, 0x3beb, v29
	v_add_f16_e32 v6, v9, v6
	v_add_f16_e32 v60, v16, v60
	v_fma_f16 v62, v30, s4, v61
	v_add_f16_e32 v6, v7, v6
	v_add_f16_e32 v60, v60, v62
	v_mul_f16_e32 v62, 0xb853, v31
	v_add_f16_e32 v0, v0, v6
	v_fma_f16 v63, v32, s1, v62
	v_add_f16_e32 v0, v1, v0
	v_add_f16_e32 v60, v60, v63
	v_mul_f16_e32 v63, 0xb482, v33
	v_add_f16_e32 v9, v17, v0
	v_add_f16_e32 v0, v16, v18
	v_fma_f16 v64, v34, s0, v63
	v_add_f16_e32 v0, v0, v19
	v_add_f16_e32 v60, v60, v64
	v_mul_f16_e32 v64, 0x3b47, v35
	v_add_f16_e32 v0, v0, v20
	v_fma_f16 v65, v36, s3, v64
	v_add_f16_e32 v0, v0, v21
	v_add_f16_e32 v60, v60, v65
	v_mul_f16_e32 v65, 0xba0c, v38
	v_add_f16_e32 v0, v0, v22
	v_fma_f16 v66, v37, s2, -v65
	v_mul_f16_e32 v67, 0x3beb, v40
	v_add_f16_e32 v0, v0, v23
	v_add_f16_e32 v66, v8, v66
	v_fma_f16 v68, v39, s4, -v67
	v_add_f16_e32 v0, v26, v0
	v_add_f16_e32 v66, v66, v68
	v_mul_f16_e32 v68, 0xb853, v51
	v_add_f16_e32 v0, v15, v0
	v_fma_f16 v69, v50, s1, -v68
	v_add_f16_e32 v0, v25, v0
	v_add_f16_e32 v66, v66, v69
	v_mul_f16_e32 v69, 0xb482, v54
	v_add_f16_e32 v10, v24, v0
	v_fma_f16 v0, v28, s0, -v41
	v_fma_f16 v70, v53, s0, -v69
	v_add_f16_e32 v0, v16, v0
	v_fma_f16 v1, v30, s1, -v42
	v_add_f16_e32 v66, v66, v70
	v_mul_f16_e32 v70, 0x3b47, v57
	v_add_f16_e32 v0, v0, v1
	v_fma_f16 v1, v32, s2, -v43
	v_fma_f16 v71, v56, s3, -v70
	v_add_f16_e32 v0, v0, v1
	v_fma_f16 v1, v34, s3, -v44
	v_add_f16_e32 v66, v66, v71
	v_mul_f16_e32 v71, 0xbbeb, v27
	v_add_f16_e32 v0, v0, v1
	v_fma_f16 v1, v36, s4, -v45
	v_fma_f16 v72, v28, s4, v71
	v_mul_f16_e32 v73, 0x3482, v29
	v_add_f16_e32 v11, v0, v1
	v_fma_f16 v0, v37, s0, v46
	v_add_f16_e32 v72, v16, v72
	v_fma_f16 v74, v30, s0, v73
	;; [unrolled: 2-line block ×3, first 2 shown]
	v_add_f16_e32 v72, v72, v74
	v_mul_f16_e32 v74, 0x3b47, v31
	v_add_f16_e32 v0, v0, v1
	v_fma_f16 v1, v50, s2, v52
	v_fma_f16 v75, v32, s3, v74
	v_add_f16_e32 v0, v0, v1
	v_fma_f16 v1, v53, s3, v55
	v_add_f16_e32 v72, v72, v75
	v_mul_f16_e32 v75, 0xb853, v33
	v_add_f16_e32 v0, v0, v1
	v_fma_f16 v1, v56, s4, v58
	v_fma_f16 v76, v34, s1, v75
	v_add_f16_e32 v12, v0, v1
	v_fma_f16 v0, v28, s2, -v59
	v_add_f16_e32 v72, v72, v76
	v_mul_f16_e32 v76, 0xba0c, v35
	v_add_f16_e32 v0, v16, v0
	v_fma_f16 v1, v30, s4, -v61
	v_fma_f16 v77, v36, s2, v76
	v_add_f16_e32 v0, v0, v1
	v_fma_f16 v1, v32, s1, -v62
	v_add_f16_e32 v72, v72, v77
	v_mul_f16_e32 v77, 0xbbeb, v38
	v_add_f16_e32 v0, v0, v1
	v_fma_f16 v1, v34, s0, -v63
	v_fma_f16 v78, v37, s4, -v77
	v_mul_f16_e32 v79, 0x3482, v40
	v_add_f16_e32 v0, v0, v1
	v_fma_f16 v1, v36, s3, -v64
	v_add_f16_e32 v78, v8, v78
	v_fma_f16 v80, v39, s0, -v79
	v_add_f16_e32 v13, v0, v1
	v_fma_f16 v0, v37, s2, v65
	v_add_f16_e32 v78, v78, v80
	v_mul_f16_e32 v80, 0x3b47, v51
	v_add_f16_e32 v0, v8, v0
	v_fma_f16 v1, v39, s4, v67
	v_fma_f16 v81, v50, s3, -v80
	v_add_f16_e32 v0, v0, v1
	v_fma_f16 v1, v50, s1, v68
	v_add_f16_e32 v78, v78, v81
	v_mul_f16_e32 v81, 0xb853, v54
	v_add_f16_e32 v0, v0, v1
	v_fma_f16 v1, v53, s0, v69
	v_fma_f16 v82, v53, s1, -v81
	v_add_f16_e32 v0, v0, v1
	v_fma_f16 v1, v56, s3, v70
	v_add_f16_e32 v78, v78, v82
	v_mul_f16_e32 v82, 0xba0c, v57
	v_add_f16_e32 v15, v0, v1
	v_fma_f16 v0, v28, s4, -v71
	v_fma_f16 v83, v56, s2, -v82
	v_add_f16_e32 v0, v16, v0
	v_fma_f16 v1, v30, s0, -v73
	v_add_f16_e32 v78, v78, v83
	v_mul_f16_e32 v83, 0xbb47, v27
	v_add_f16_e32 v0, v0, v1
	v_fma_f16 v1, v32, s3, -v74
	v_fma_f16 v84, v28, s3, v83
	v_mul_f16_e32 v85, 0xba0c, v29
	v_add_f16_e32 v0, v0, v1
	v_fma_f16 v1, v34, s1, -v75
	v_add_f16_e32 v84, v16, v84
	v_fma_f16 v86, v30, s2, v85
	v_add_f16_e32 v0, v0, v1
	v_fma_f16 v1, v36, s2, -v76
	v_add_f16_e32 v84, v84, v86
	v_mul_f16_e32 v86, 0x3482, v31
	v_add_f16_e32 v17, v0, v1
	v_fma_f16 v0, v37, s4, v77
	v_fma_f16 v87, v32, s0, v86
	v_add_f16_e32 v0, v8, v0
	v_fma_f16 v1, v39, s0, v79
	v_add_f16_e32 v84, v84, v87
	v_mul_f16_e32 v87, 0x3beb, v33
	v_add_f16_e32 v0, v0, v1
	v_fma_f16 v1, v50, s3, v80
	v_fma_f16 v88, v34, s4, v87
	v_add_f16_e32 v0, v0, v1
	v_fma_f16 v1, v53, s1, v81
	v_add_f16_e32 v84, v84, v88
	v_mul_f16_e32 v88, 0x3853, v35
	v_add_f16_e32 v0, v0, v1
	v_fma_f16 v1, v56, s2, v82
	v_fma_f16 v89, v36, s1, v88
	v_add_f16_e32 v18, v0, v1
	v_fma_f16 v0, v28, s3, -v83
	v_add_f16_e32 v84, v84, v89
	v_mul_f16_e32 v89, 0xbb47, v38
	v_add_f16_e32 v0, v16, v0
	v_fma_f16 v1, v30, s2, -v85
	v_fma_f16 v90, v37, s3, -v89
	v_mul_f16_e32 v91, 0xba0c, v40
	v_add_f16_e32 v0, v0, v1
	v_fma_f16 v1, v32, s0, -v86
	v_add_f16_e32 v90, v8, v90
	v_fma_f16 v92, v39, s2, -v91
	;; [unrolled: 2-line block ×3, first 2 shown]
	v_add_f16_e32 v90, v90, v92
	v_mul_f16_e32 v92, 0x3482, v51
	v_add_f16_e32 v0, v0, v1
	v_fma_f16 v1, v36, s1, -v88
	v_fma_f16 v93, v50, s0, -v92
	v_add_f16_e32 v19, v0, v1
	v_fma_f16 v0, v37, s3, v89
	v_add_f16_e32 v90, v90, v93
	v_mul_f16_e32 v93, 0x3beb, v54
	v_add_f16_e32 v0, v8, v0
	v_fma_f16 v1, v39, s2, v91
	v_fma_f16 v94, v53, s4, -v93
	v_add_f16_e32 v0, v0, v1
	v_fma_f16 v1, v50, s0, v92
	v_add_f16_e32 v90, v90, v94
	v_mul_f16_e32 v94, 0x3853, v57
	v_add_f16_e32 v0, v0, v1
	v_fma_f16 v1, v53, s4, v93
	v_mul_f16_e32 v27, 0xb853, v27
	v_add_f16_e32 v0, v0, v1
	v_fma_f16 v1, v56, s1, v94
	v_fma_f16 v95, v56, s1, -v94
	v_mul_f16_e32 v29, 0xbb47, v29
	v_add_f16_e32 v20, v0, v1
	v_fma_f16 v0, v28, s1, -v27
	v_add_f16_e32 v90, v90, v95
	v_fma_f16 v95, v28, s1, v27
	v_mul_f16_e32 v31, 0xbbeb, v31
	v_add_f16_e32 v0, v16, v0
	v_fma_f16 v1, v30, s3, -v29
	v_add_f16_e32 v95, v16, v95
	v_fma_f16 v96, v30, s3, v29
	;; [unrolled: 5-line block ×5, first 2 shown]
	v_mul_f16_e32 v40, 0xbb47, v40
	v_add_f16_e32 v16, v0, v1
	v_fma_f16 v0, v37, s1, v38
	v_add_f16_e32 v95, v95, v96
	v_fma_f16 v96, v37, s1, -v38
	v_mul_f16_e32 v51, 0xbbeb, v51
	v_add_f16_e32 v0, v8, v0
	v_fma_f16 v1, v39, s3, v40
	v_add_f16_e32 v96, v8, v96
	v_fma_f16 v97, v39, s3, -v40
	;; [unrolled: 5-line block ×4, first 2 shown]
	v_add_f16_e32 v0, v0, v1
	v_fma_f16 v1, v56, s0, v57
	v_add_f16_e32 v96, v96, v97
	v_fma_f16 v97, v56, s0, -v57
	v_add_f16_e32 v8, v0, v1
	v_mad_u64_u32 v[0:1], s[0:1], s16, v14, 0
	v_mov_b32_e32 v6, v1
	v_mad_u64_u32 v[6:7], s[0:1], s17, v14, v[6:7]
	v_mov_b32_e32 v1, v6
	v_lshl_add_u64 v[0:1], v[0:1], 2, v[2:3]
	v_pack_b32_f16 v4, v9, v10
	global_store_dword v[0:1], v4, off
	v_mad_u64_u32 v[0:1], s[0:1], s16, v5, 0
	v_mov_b32_e32 v4, v1
	v_mad_u64_u32 v[4:5], s[0:1], s17, v5, v[4:5]
	v_add_f16_e32 v96, v96, v97
	v_mov_b32_e32 v1, v4
	v_lshl_add_u64 v[0:1], v[0:1], 2, v[2:3]
	v_pack_b32_f16 v4, v96, v95
	v_add_u32_e32 v5, 0x126, v14
	global_store_dword v[0:1], v4, off
	v_mad_u64_u32 v[0:1], s[0:1], s16, v5, 0
	v_mov_b32_e32 v4, v1
	v_mad_u64_u32 v[4:5], s[0:1], s17, v5, v[4:5]
	v_mov_b32_e32 v1, v4
	v_lshl_add_u64 v[0:1], v[0:1], 2, v[2:3]
	v_pack_b32_f16 v4, v90, v84
	v_add_u32_e32 v5, 0x1b9, v14
	global_store_dword v[0:1], v4, off
	v_mad_u64_u32 v[0:1], s[0:1], s16, v5, 0
	v_mov_b32_e32 v4, v1
	v_mad_u64_u32 v[4:5], s[0:1], s17, v5, v[4:5]
	v_mov_b32_e32 v1, v4
	v_lshl_add_u64 v[0:1], v[0:1], 2, v[2:3]
	v_pack_b32_f16 v4, v78, v72
	v_add_u32_e32 v5, 0x24c, v14
	global_store_dword v[0:1], v4, off
	v_mad_u64_u32 v[0:1], s[0:1], s16, v5, 0
	v_mov_b32_e32 v4, v1
	v_mad_u64_u32 v[4:5], s[0:1], s17, v5, v[4:5]
	v_mov_b32_e32 v1, v4
	v_lshl_add_u64 v[0:1], v[0:1], 2, v[2:3]
	v_pack_b32_f16 v4, v66, v60
	v_add_u32_e32 v5, 0x2df, v14
	global_store_dword v[0:1], v4, off
	v_mad_u64_u32 v[0:1], s[0:1], s16, v5, 0
	v_mov_b32_e32 v4, v1
	v_mad_u64_u32 v[4:5], s[0:1], s17, v5, v[4:5]
	v_mov_b32_e32 v1, v4
	v_lshl_add_u64 v[0:1], v[0:1], 2, v[2:3]
	v_pack_b32_f16 v4, v49, v48
	v_add_u32_e32 v5, 0x372, v14
	global_store_dword v[0:1], v4, off
	v_mad_u64_u32 v[0:1], s[0:1], s16, v5, 0
	v_mov_b32_e32 v4, v1
	v_mad_u64_u32 v[4:5], s[0:1], s17, v5, v[4:5]
	v_mov_b32_e32 v1, v4
	v_lshl_add_u64 v[0:1], v[0:1], 2, v[2:3]
	v_pack_b32_f16 v4, v12, v11
	v_add_u32_e32 v5, 0x405, v14
	global_store_dword v[0:1], v4, off
	v_mad_u64_u32 v[0:1], s[0:1], s16, v5, 0
	v_mov_b32_e32 v4, v1
	v_mad_u64_u32 v[4:5], s[0:1], s17, v5, v[4:5]
	v_mov_b32_e32 v1, v4
	v_lshl_add_u64 v[0:1], v[0:1], 2, v[2:3]
	v_pack_b32_f16 v4, v15, v13
	v_add_u32_e32 v5, 0x498, v14
	global_store_dword v[0:1], v4, off
	v_mad_u64_u32 v[0:1], s[0:1], s16, v5, 0
	v_mov_b32_e32 v4, v1
	v_mad_u64_u32 v[4:5], s[0:1], s17, v5, v[4:5]
	v_mov_b32_e32 v1, v4
	v_lshl_add_u64 v[0:1], v[0:1], 2, v[2:3]
	v_pack_b32_f16 v4, v18, v17
	v_add_u32_e32 v5, 0x52b, v14
	global_store_dword v[0:1], v4, off
	v_mad_u64_u32 v[0:1], s[0:1], s16, v5, 0
	v_mov_b32_e32 v4, v1
	v_mad_u64_u32 v[4:5], s[0:1], s17, v5, v[4:5]
	v_mov_b32_e32 v1, v4
	v_lshl_add_u64 v[0:1], v[0:1], 2, v[2:3]
	v_pack_b32_f16 v4, v20, v19
	v_add_u32_e32 v5, 0x5be, v14
	global_store_dword v[0:1], v4, off
	v_mad_u64_u32 v[0:1], s[0:1], s16, v5, 0
	v_mov_b32_e32 v4, v1
	v_mad_u64_u32 v[4:5], s[0:1], s17, v5, v[4:5]
	v_mov_b32_e32 v1, v4
	v_lshl_add_u64 v[0:1], v[0:1], 2, v[2:3]
	v_pack_b32_f16 v2, v8, v16
	global_store_dword v[0:1], v2, off
.LBB0_21:
	s_endpgm
	.section	.rodata,"a",@progbits
	.p2align	6, 0x0
	.amdhsa_kernel fft_rtc_fwd_len1617_factors_3_7_7_11_wgs_231_tpt_231_half_op_CI_CI_sbrr_dirReg
		.amdhsa_group_segment_fixed_size 0
		.amdhsa_private_segment_fixed_size 0
		.amdhsa_kernarg_size 104
		.amdhsa_user_sgpr_count 2
		.amdhsa_user_sgpr_dispatch_ptr 0
		.amdhsa_user_sgpr_queue_ptr 0
		.amdhsa_user_sgpr_kernarg_segment_ptr 1
		.amdhsa_user_sgpr_dispatch_id 0
		.amdhsa_user_sgpr_kernarg_preload_length 0
		.amdhsa_user_sgpr_kernarg_preload_offset 0
		.amdhsa_user_sgpr_private_segment_size 0
		.amdhsa_uses_dynamic_stack 0
		.amdhsa_enable_private_segment 0
		.amdhsa_system_sgpr_workgroup_id_x 1
		.amdhsa_system_sgpr_workgroup_id_y 0
		.amdhsa_system_sgpr_workgroup_id_z 0
		.amdhsa_system_sgpr_workgroup_info 0
		.amdhsa_system_vgpr_workitem_id 0
		.amdhsa_next_free_vgpr 98
		.amdhsa_next_free_sgpr 32
		.amdhsa_accum_offset 100
		.amdhsa_reserve_vcc 1
		.amdhsa_float_round_mode_32 0
		.amdhsa_float_round_mode_16_64 0
		.amdhsa_float_denorm_mode_32 3
		.amdhsa_float_denorm_mode_16_64 3
		.amdhsa_dx10_clamp 1
		.amdhsa_ieee_mode 1
		.amdhsa_fp16_overflow 0
		.amdhsa_tg_split 0
		.amdhsa_exception_fp_ieee_invalid_op 0
		.amdhsa_exception_fp_denorm_src 0
		.amdhsa_exception_fp_ieee_div_zero 0
		.amdhsa_exception_fp_ieee_overflow 0
		.amdhsa_exception_fp_ieee_underflow 0
		.amdhsa_exception_fp_ieee_inexact 0
		.amdhsa_exception_int_div_zero 0
	.end_amdhsa_kernel
	.text
.Lfunc_end0:
	.size	fft_rtc_fwd_len1617_factors_3_7_7_11_wgs_231_tpt_231_half_op_CI_CI_sbrr_dirReg, .Lfunc_end0-fft_rtc_fwd_len1617_factors_3_7_7_11_wgs_231_tpt_231_half_op_CI_CI_sbrr_dirReg
                                        ; -- End function
	.section	.AMDGPU.csdata,"",@progbits
; Kernel info:
; codeLenInByte = 7324
; NumSgprs: 38
; NumVgprs: 98
; NumAgprs: 0
; TotalNumVgprs: 98
; ScratchSize: 0
; MemoryBound: 0
; FloatMode: 240
; IeeeMode: 1
; LDSByteSize: 0 bytes/workgroup (compile time only)
; SGPRBlocks: 4
; VGPRBlocks: 12
; NumSGPRsForWavesPerEU: 38
; NumVGPRsForWavesPerEU: 98
; AccumOffset: 100
; Occupancy: 4
; WaveLimiterHint : 1
; COMPUTE_PGM_RSRC2:SCRATCH_EN: 0
; COMPUTE_PGM_RSRC2:USER_SGPR: 2
; COMPUTE_PGM_RSRC2:TRAP_HANDLER: 0
; COMPUTE_PGM_RSRC2:TGID_X_EN: 1
; COMPUTE_PGM_RSRC2:TGID_Y_EN: 0
; COMPUTE_PGM_RSRC2:TGID_Z_EN: 0
; COMPUTE_PGM_RSRC2:TIDIG_COMP_CNT: 0
; COMPUTE_PGM_RSRC3_GFX90A:ACCUM_OFFSET: 24
; COMPUTE_PGM_RSRC3_GFX90A:TG_SPLIT: 0
	.text
	.p2alignl 6, 3212836864
	.fill 256, 4, 3212836864
	.type	__hip_cuid_271e4f0c923f090c,@object ; @__hip_cuid_271e4f0c923f090c
	.section	.bss,"aw",@nobits
	.globl	__hip_cuid_271e4f0c923f090c
__hip_cuid_271e4f0c923f090c:
	.byte	0                               ; 0x0
	.size	__hip_cuid_271e4f0c923f090c, 1

	.ident	"AMD clang version 19.0.0git (https://github.com/RadeonOpenCompute/llvm-project roc-6.4.0 25133 c7fe45cf4b819c5991fe208aaa96edf142730f1d)"
	.section	".note.GNU-stack","",@progbits
	.addrsig
	.addrsig_sym __hip_cuid_271e4f0c923f090c
	.amdgpu_metadata
---
amdhsa.kernels:
  - .agpr_count:     0
    .args:
      - .actual_access:  read_only
        .address_space:  global
        .offset:         0
        .size:           8
        .value_kind:     global_buffer
      - .offset:         8
        .size:           8
        .value_kind:     by_value
      - .actual_access:  read_only
        .address_space:  global
        .offset:         16
        .size:           8
        .value_kind:     global_buffer
      - .actual_access:  read_only
        .address_space:  global
        .offset:         24
        .size:           8
        .value_kind:     global_buffer
      - .actual_access:  read_only
        .address_space:  global
        .offset:         32
        .size:           8
        .value_kind:     global_buffer
      - .offset:         40
        .size:           8
        .value_kind:     by_value
      - .actual_access:  read_only
        .address_space:  global
        .offset:         48
        .size:           8
        .value_kind:     global_buffer
      - .actual_access:  read_only
        .address_space:  global
        .offset:         56
        .size:           8
        .value_kind:     global_buffer
      - .offset:         64
        .size:           4
        .value_kind:     by_value
      - .actual_access:  read_only
        .address_space:  global
        .offset:         72
        .size:           8
        .value_kind:     global_buffer
      - .actual_access:  read_only
        .address_space:  global
        .offset:         80
        .size:           8
        .value_kind:     global_buffer
      - .actual_access:  read_only
        .address_space:  global
        .offset:         88
        .size:           8
        .value_kind:     global_buffer
      - .actual_access:  write_only
        .address_space:  global
        .offset:         96
        .size:           8
        .value_kind:     global_buffer
    .group_segment_fixed_size: 0
    .kernarg_segment_align: 8
    .kernarg_segment_size: 104
    .language:       OpenCL C
    .language_version:
      - 2
      - 0
    .max_flat_workgroup_size: 231
    .name:           fft_rtc_fwd_len1617_factors_3_7_7_11_wgs_231_tpt_231_half_op_CI_CI_sbrr_dirReg
    .private_segment_fixed_size: 0
    .sgpr_count:     38
    .sgpr_spill_count: 0
    .symbol:         fft_rtc_fwd_len1617_factors_3_7_7_11_wgs_231_tpt_231_half_op_CI_CI_sbrr_dirReg.kd
    .uniform_work_group_size: 1
    .uses_dynamic_stack: false
    .vgpr_count:     98
    .vgpr_spill_count: 0
    .wavefront_size: 64
amdhsa.target:   amdgcn-amd-amdhsa--gfx950
amdhsa.version:
  - 1
  - 2
...

	.end_amdgpu_metadata
